;; amdgpu-corpus repo=ROCm/rocFFT kind=compiled arch=gfx1201 opt=O3
	.text
	.amdgcn_target "amdgcn-amd-amdhsa--gfx1201"
	.amdhsa_code_object_version 6
	.protected	bluestein_single_fwd_len100_dim1_sp_op_CI_CI ; -- Begin function bluestein_single_fwd_len100_dim1_sp_op_CI_CI
	.globl	bluestein_single_fwd_len100_dim1_sp_op_CI_CI
	.p2align	8
	.type	bluestein_single_fwd_len100_dim1_sp_op_CI_CI,@function
bluestein_single_fwd_len100_dim1_sp_op_CI_CI: ; @bluestein_single_fwd_len100_dim1_sp_op_CI_CI
; %bb.0:
	s_load_b128 s[16:19], s[0:1], 0x28
	v_mul_u32_u24_e32 v1, 0x199a, v0
	s_mov_b32 s2, exec_lo
	s_delay_alu instid0(VALU_DEP_1) | instskip(NEXT) | instid1(VALU_DEP_1)
	v_lshrrev_b32_e32 v1, 16, v1
	v_mad_co_u64_u32 v[20:21], null, ttmp9, 6, v[1:2]
	v_mov_b32_e32 v21, 0
	s_wait_kmcnt 0x0
	s_delay_alu instid0(VALU_DEP_1)
	v_cmpx_gt_u64_e64 s[16:17], v[20:21]
	s_cbranch_execz .LBB0_2
; %bb.1:
	s_clause 0x1
	s_load_b128 s[4:7], s[0:1], 0x18
	s_load_b128 s[8:11], s[0:1], 0x0
	v_mul_lo_u16 v1, v1, 10
	v_mul_hi_u32 v43, 0xaaaaaaab, v20
	s_load_b64 s[0:1], s[0:1], 0x38
	s_delay_alu instid0(VALU_DEP_2) | instskip(NEXT) | instid1(VALU_DEP_2)
	v_sub_nc_u16 v39, v0, v1
	v_lshrrev_b32_e32 v43, 2, v43
	s_delay_alu instid0(VALU_DEP_2) | instskip(NEXT) | instid1(VALU_DEP_2)
	v_and_b32_e32 v42, 0xffff, v39
	v_mul_lo_u32 v43, v43, 6
	s_wait_kmcnt 0x0
	s_load_b128 s[12:15], s[4:5], 0x0
	s_delay_alu instid0(VALU_DEP_1) | instskip(NEXT) | instid1(VALU_DEP_1)
	v_sub_nc_u32_e32 v43, v20, v43
	v_mul_u32_u24_e32 v43, 0x64, v43
	s_wait_kmcnt 0x0
	v_mad_co_u64_u32 v[0:1], null, s14, v20, 0
	v_mad_co_u64_u32 v[2:3], null, s12, v42, 0
	s_mul_u64 s[2:3], s[12:13], 0x50
	s_delay_alu instid0(VALU_DEP_1) | instskip(NEXT) | instid1(VALU_DEP_1)
	v_mad_co_u64_u32 v[4:5], null, s15, v20, v[1:2]
	v_mov_b32_e32 v1, v4
	s_delay_alu instid0(VALU_DEP_3) | instskip(SKIP_2) | instid1(VALU_DEP_4)
	v_mad_co_u64_u32 v[5:6], null, s13, v42, v[3:4]
	v_or_b32_e32 v41, 0x50, v42
	v_lshlrev_b32_e32 v40, 3, v42
	v_lshlrev_b64_e32 v[0:1], 3, v[0:1]
	s_delay_alu instid0(VALU_DEP_4) | instskip(NEXT) | instid1(VALU_DEP_4)
	v_mov_b32_e32 v3, v5
	v_mad_co_u64_u32 v[4:5], null, s12, v41, 0
	s_delay_alu instid0(VALU_DEP_3) | instskip(NEXT) | instid1(VALU_DEP_3)
	v_add_co_u32 v14, vcc_lo, s18, v0
	v_lshlrev_b64_e32 v[2:3], 3, v[2:3]
	v_add_co_ci_u32_e32 v15, vcc_lo, s19, v1, vcc_lo
	s_clause 0x1
	global_load_b64 v[16:17], v40, s[8:9]
	global_load_b64 v[18:19], v40, s[8:9] offset:640
	v_mov_b32_e32 v0, v5
	v_add_co_u32 v1, vcc_lo, v14, v2
	s_wait_alu 0xfffd
	v_add_co_ci_u32_e32 v2, vcc_lo, v15, v3, vcc_lo
	s_delay_alu instid0(VALU_DEP_2)
	v_mad_co_u64_u32 v[5:6], null, s13, v41, v[0:1]
	v_add_co_u32 v6, vcc_lo, v1, s2
	global_load_b64 v[0:1], v[1:2], off
	s_wait_alu 0xfffd
	v_add_co_ci_u32_e32 v7, vcc_lo, s3, v2, vcc_lo
	v_add_co_u32 v8, vcc_lo, v6, s2
	v_lshlrev_b64_e32 v[3:4], 3, v[4:5]
	s_wait_alu 0xfffd
	s_delay_alu instid0(VALU_DEP_3) | instskip(NEXT) | instid1(VALU_DEP_3)
	v_add_co_ci_u32_e32 v9, vcc_lo, s3, v7, vcc_lo
	v_add_co_u32 v10, vcc_lo, v8, s2
	v_lshlrev_b32_e32 v50, 3, v43
	s_wait_alu 0xfffd
	s_delay_alu instid0(VALU_DEP_3) | instskip(NEXT) | instid1(VALU_DEP_3)
	v_add_co_ci_u32_e32 v11, vcc_lo, s3, v9, vcc_lo
	v_add_co_u32 v12, vcc_lo, v10, s2
	s_wait_alu 0xfffd
	s_delay_alu instid0(VALU_DEP_2)
	v_add_co_ci_u32_e32 v13, vcc_lo, s3, v11, vcc_lo
	v_add_co_u32 v3, vcc_lo, v14, v3
	s_wait_alu 0xfffd
	v_add_co_ci_u32_e32 v4, vcc_lo, v15, v4, vcc_lo
	v_add_co_u32 v14, vcc_lo, v12, s2
	s_wait_alu 0xfffd
	v_add_co_ci_u32_e32 v15, vcc_lo, s3, v13, vcc_lo
	global_load_b64 v[2:3], v[3:4], off
	v_add_co_u32 v31, vcc_lo, v14, s2
	s_wait_alu 0xfffd
	v_add_co_ci_u32_e32 v32, vcc_lo, s3, v15, vcc_lo
	global_load_b64 v[21:22], v40, s[8:9] offset:80
	global_load_b64 v[6:7], v[6:7], off
	v_add_co_u32 v4, vcc_lo, v31, s2
	s_wait_alu 0xfffd
	v_add_co_ci_u32_e32 v5, vcc_lo, s3, v32, vcc_lo
	global_load_b64 v[8:9], v[8:9], off
	s_clause 0x1
	global_load_b64 v[25:26], v40, s[8:9] offset:160
	global_load_b64 v[23:24], v40, s[8:9] offset:240
	s_clause 0x1
	global_load_b64 v[10:11], v[10:11], off
	global_load_b64 v[12:13], v[12:13], off
	global_load_b64 v[27:28], v40, s[8:9] offset:320
	s_add_nc_u64 s[2:3], s[8:9], 0x320
	v_mad_co_u64_u32 v[37:38], null, 0xa0, s12, v[4:5]
	s_delay_alu instid0(VALU_DEP_1) | instskip(NEXT) | instid1(VALU_DEP_1)
	v_mov_b32_e32 v29, v38
	v_mad_co_u64_u32 v[33:34], null, 0xa0, s13, v[29:30]
	global_load_b64 v[14:15], v[14:15], off
	global_load_b64 v[29:30], v40, s[8:9] offset:400
	global_load_b64 v[44:45], v[31:32], off
	global_load_b64 v[31:32], v40, s[8:9] offset:480
	s_wait_loadcnt 0xd
	v_dual_mul_f32 v47, v0, v17 :: v_dual_mov_b32 v38, v33
	v_add_nc_u32_e32 v43, v40, v50
	global_load_b64 v[35:36], v40, s[8:9] offset:560
	global_load_b64 v[4:5], v[4:5], off
	global_load_b64 v[33:34], v40, s[8:9] offset:720
	global_load_b64 v[37:38], v[37:38], off
	v_mul_f32_e32 v46, v1, v17
	v_fma_f32 v47, v1, v16, -v47
	s_load_b128 s[4:7], s[6:7], 0x0
	s_wait_loadcnt 0x10
	v_mul_f32_e32 v49, v2, v19
	v_mul_f32_e32 v48, v3, v19
	v_fmac_f32_e32 v46, v0, v16
	s_wait_loadcnt 0xe
	v_mul_f32_e32 v0, v7, v22
	v_mul_f32_e32 v1, v6, v22
	v_fmac_f32_e32 v48, v2, v18
	s_wait_loadcnt 0xc
	v_mul_f32_e32 v2, v9, v26
	v_fma_f32 v49, v3, v18, -v49
	v_mul_f32_e32 v3, v8, v26
	v_fma_f32 v1, v7, v21, -v1
	s_wait_loadcnt 0xa
	v_mul_f32_e32 v7, v10, v24
	v_fmac_f32_e32 v0, v6, v21
	v_mul_f32_e32 v6, v11, v24
	v_fmac_f32_e32 v2, v8, v25
	s_wait_loadcnt 0x8
	v_mul_f32_e32 v8, v13, v28
	v_fma_f32 v3, v9, v25, -v3
	v_fma_f32 v7, v11, v23, -v7
	v_mul_f32_e32 v9, v12, v28
	s_delay_alu instid0(VALU_DEP_4) | instskip(NEXT) | instid1(VALU_DEP_2)
	v_fmac_f32_e32 v8, v12, v27
	v_fma_f32 v9, v13, v27, -v9
	s_wait_loadcnt 0x4
	v_dual_mul_f32 v11, v14, v30 :: v_dual_mul_f32 v12, v45, v32
	v_mul_f32_e32 v13, v44, v32
	s_delay_alu instid0(VALU_DEP_2) | instskip(NEXT) | instid1(VALU_DEP_3)
	v_fma_f32 v11, v15, v29, -v11
	v_fmac_f32_e32 v12, v44, v31
	s_delay_alu instid0(VALU_DEP_3) | instskip(SKIP_4) | instid1(VALU_DEP_3)
	v_fma_f32 v13, v45, v31, -v13
	s_wait_loadcnt 0x0
	v_dual_mul_f32 v51, v37, v34 :: v_dual_fmac_f32 v6, v10, v23
	v_dual_mul_f32 v10, v15, v30 :: v_dual_mul_f32 v15, v4, v36
	v_mul_f32_e32 v44, v38, v34
	v_fma_f32 v45, v38, v33, -v51
	s_delay_alu instid0(VALU_DEP_3) | instskip(SKIP_4) | instid1(VALU_DEP_4)
	v_fmac_f32_e32 v10, v14, v29
	v_mul_f32_e32 v14, v5, v36
	v_fma_f32 v15, v5, v35, -v15
	v_fmac_f32_e32 v44, v37, v33
	v_mul_lo_u16 v37, v39, 10
	v_fmac_f32_e32 v14, v4, v35
	ds_store_2addr_b64 v43, v[46:47], v[0:1] offset1:10
	ds_store_2addr_b64 v43, v[2:3], v[6:7] offset0:20 offset1:30
	ds_store_2addr_b64 v43, v[8:9], v[10:11] offset0:40 offset1:50
	;; [unrolled: 1-line block ×4, first 2 shown]
	global_wb scope:SCOPE_SE
	s_wait_dscnt 0x0
	s_wait_kmcnt 0x0
	s_barrier_signal -1
	s_barrier_wait -1
	global_inv scope:SCOPE_SE
	ds_load_2addr_b64 v[0:3], v43 offset1:10
	ds_load_2addr_b64 v[4:7], v43 offset0:20 offset1:30
	ds_load_2addr_b64 v[8:11], v43 offset0:40 offset1:50
	;; [unrolled: 1-line block ×4, first 2 shown]
	v_and_b32_e32 v39, 0xffff, v37
	v_mad_co_u64_u32 v[37:38], null, 0x48, v42, s[10:11]
	global_wb scope:SCOPE_SE
	s_wait_dscnt 0x0
	s_barrier_signal -1
	v_lshl_add_u32 v39, v39, 3, v50
	s_barrier_wait -1
	global_inv scope:SCOPE_SE
	v_add_f32_e32 v48, v0, v4
	v_sub_f32_e32 v52, v4, v8
	v_add_f32_e32 v49, v8, v12
	v_sub_f32_e32 v63, v13, v45
	v_sub_f32_e32 v53, v44, v12
	v_add_f32_e32 v57, v1, v5
	v_dual_add_f32 v58, v9, v13 :: v_dual_sub_f32 v77, v47, v15
	v_dual_sub_f32 v50, v5, v45 :: v_dual_sub_f32 v69, v46, v14
	v_dual_sub_f32 v51, v9, v13 :: v_dual_add_f32 v54, v4, v44
	v_add_f32_e32 v73, v3, v7
	v_sub_f32_e32 v55, v8, v4
	v_sub_f32_e32 v4, v4, v44
	v_dual_sub_f32 v59, v8, v12 :: v_dual_sub_f32 v60, v5, v9
	v_dual_sub_f32 v79, v15, v47 :: v_dual_add_f32 v64, v2, v6
	v_add_f32_e32 v62, v5, v45
	v_dual_sub_f32 v5, v9, v5 :: v_dual_sub_f32 v66, v7, v47
	v_dual_add_f32 v9, v57, v9 :: v_dual_add_f32 v8, v48, v8
	v_fma_f32 v48, -0.5, v49, v0
	v_add_f32_e32 v49, v52, v53
	v_fma_f32 v53, -0.5, v58, v1
	v_dual_sub_f32 v56, v12, v44 :: v_dual_sub_f32 v75, v10, v14
	v_dual_sub_f32 v61, v45, v13 :: v_dual_sub_f32 v76, v7, v11
	v_dual_add_f32 v9, v9, v13 :: v_dual_add_f32 v78, v7, v47
	v_sub_f32_e32 v7, v11, v7
	v_dual_fmamk_f32 v13, v4, 0xbf737871, v53 :: v_dual_add_f32 v74, v11, v15
	v_add_f32_e32 v65, v10, v14
	v_dual_sub_f32 v67, v11, v15 :: v_dual_sub_f32 v68, v6, v10
	v_sub_f32_e32 v71, v10, v6
	v_dual_sub_f32 v72, v14, v46 :: v_dual_add_f32 v11, v73, v11
	v_add_f32_e32 v70, v6, v46
	v_dual_sub_f32 v6, v6, v46 :: v_dual_add_f32 v7, v7, v79
	v_fma_f32 v52, -0.5, v54, v0
	v_add_f32_e32 v0, v55, v56
	v_fma_f32 v55, -0.5, v62, v1
	v_fma_f32 v58, -0.5, v74, v3
	v_dual_add_f32 v54, v60, v61 :: v_dual_fmac_f32 v53, 0x3f737871, v4
	v_add_f32_e32 v1, v5, v63
	v_add_f32_e32 v5, v64, v10
	v_fma_f32 v10, -0.5, v65, v2
	v_dual_fmamk_f32 v61, v51, 0xbf737871, v52 :: v_dual_add_f32 v8, v8, v12
	v_dual_add_f32 v11, v11, v15 :: v_dual_fmamk_f32 v12, v50, 0x3f737871, v48
	v_dual_add_f32 v9, v9, v45 :: v_dual_fmamk_f32 v62, v59, 0x3f737871, v55
	s_delay_alu instid0(VALU_DEP_3)
	v_dual_fmamk_f32 v15, v6, 0xbf737871, v58 :: v_dual_add_f32 v8, v8, v44
	v_dual_add_f32 v56, v68, v69 :: v_dual_add_f32 v5, v5, v14
	v_add_f32_e32 v57, v71, v72
	v_fma_f32 v2, -0.5, v70, v2
	v_dual_add_f32 v60, v76, v77 :: v_dual_fmac_f32 v3, -0.5, v78
	v_fmac_f32_e32 v55, 0xbf737871, v59
	v_fmamk_f32 v14, v66, 0x3f737871, v10
	v_dual_fmac_f32 v62, 0xbf167918, v4 :: v_dual_fmac_f32 v15, 0xbf167918, v75
	v_fmac_f32_e32 v48, 0xbf737871, v50
	v_fmamk_f32 v63, v67, 0xbf737871, v2
	v_fmac_f32_e32 v53, 0x3f167918, v59
	v_dual_fmac_f32 v55, 0x3f167918, v4 :: v_dual_add_f32 v4, v5, v46
	v_add_f32_e32 v5, v11, v47
	v_fmac_f32_e32 v14, 0x3f167918, v67
	v_dual_fmac_f32 v62, 0x3e9e377a, v1 :: v_dual_fmac_f32 v15, 0x3e9e377a, v60
	v_fmamk_f32 v64, v75, 0x3f737871, v3
	v_fmac_f32_e32 v52, 0x3f737871, v51
	v_fmac_f32_e32 v3, 0xbf737871, v75
	v_dual_fmac_f32 v12, 0x3f167918, v51 :: v_dual_fmac_f32 v61, 0x3f167918, v50
	v_dual_fmac_f32 v55, 0x3e9e377a, v1 :: v_dual_fmac_f32 v14, 0x3e9e377a, v56
	v_fmac_f32_e32 v48, 0xbf167918, v51
	v_dual_fmac_f32 v64, 0xbf167918, v6 :: v_dual_fmac_f32 v13, 0xbf167918, v59
	s_delay_alu instid0(VALU_DEP_4) | instskip(NEXT) | instid1(VALU_DEP_3)
	v_dual_fmac_f32 v12, 0x3e9e377a, v49 :: v_dual_fmac_f32 v61, 0x3e9e377a, v0
	v_fmac_f32_e32 v48, 0x3e9e377a, v49
	s_delay_alu instid0(VALU_DEP_3)
	v_fmac_f32_e32 v64, 0x3e9e377a, v7
	v_dual_fmac_f32 v2, 0x3f737871, v67 :: v_dual_add_f32 v1, v9, v5
	v_fmac_f32_e32 v52, 0xbf167918, v50
	v_mul_f32_e32 v49, 0xbf167918, v14
	v_fmac_f32_e32 v3, 0x3f167918, v6
	v_fmac_f32_e32 v13, 0x3e9e377a, v54
	v_mul_f32_e32 v44, 0x3f4f1bbd, v14
	v_mul_f32_e32 v45, 0x3f737871, v64
	v_fmac_f32_e32 v49, 0x3f4f1bbd, v15
	v_fmac_f32_e32 v2, 0xbf167918, v66
	v_dual_fmac_f32 v52, 0x3e9e377a, v0 :: v_dual_fmac_f32 v53, 0x3e9e377a, v54
	v_dual_add_f32 v0, v8, v4 :: v_dual_fmac_f32 v3, 0x3e9e377a, v7
	s_delay_alu instid0(VALU_DEP_3) | instskip(SKIP_1) | instid1(VALU_DEP_2)
	v_fmac_f32_e32 v2, 0x3e9e377a, v57
	v_dual_fmac_f32 v10, 0xbf737871, v66 :: v_dual_sub_f32 v7, v9, v5
	v_dual_mul_f32 v51, 0xbe9e377a, v3 :: v_dual_mul_f32 v46, 0xbe9e377a, v2
	s_delay_alu instid0(VALU_DEP_1) | instskip(SKIP_1) | instid1(VALU_DEP_3)
	v_fmac_f32_e32 v51, 0xbf737871, v2
	v_fmac_f32_e32 v58, 0x3f737871, v6
	v_dual_fmac_f32 v46, 0x3f737871, v3 :: v_dual_add_f32 v3, v13, v49
	v_fmac_f32_e32 v10, 0xbf167918, v67
	s_delay_alu instid0(VALU_DEP_4) | instskip(NEXT) | instid1(VALU_DEP_4)
	v_add_f32_e32 v11, v55, v51
	v_dual_fmac_f32 v63, 0x3f167918, v66 :: v_dual_fmac_f32 v58, 0x3f167918, v75
	s_delay_alu instid0(VALU_DEP_3) | instskip(NEXT) | instid1(VALU_DEP_2)
	v_dual_sub_f32 v13, v13, v49 :: v_dual_fmac_f32 v10, 0x3e9e377a, v56
	v_dual_fmac_f32 v63, 0x3e9e377a, v57 :: v_dual_fmac_f32 v58, 0x3e9e377a, v60
	s_delay_alu instid0(VALU_DEP_2) | instskip(NEXT) | instid1(VALU_DEP_2)
	v_dual_sub_f32 v6, v8, v4 :: v_dual_mul_f32 v47, 0xbf4f1bbd, v10
	v_fmac_f32_e32 v45, 0x3e9e377a, v63
	s_delay_alu instid0(VALU_DEP_3) | instskip(NEXT) | instid1(VALU_DEP_3)
	v_mul_f32_e32 v54, 0xbf4f1bbd, v58
	v_dual_fmac_f32 v44, 0x3f167918, v15 :: v_dual_fmac_f32 v47, 0x3f167918, v58
	s_delay_alu instid0(VALU_DEP_3) | instskip(NEXT) | instid1(VALU_DEP_3)
	v_add_f32_e32 v8, v61, v45
	v_fmac_f32_e32 v54, 0xbf167918, v10
	v_mul_f32_e32 v50, 0xbf737871, v63
	s_delay_alu instid0(VALU_DEP_4)
	v_add_f32_e32 v2, v12, v44
	v_add_f32_e32 v10, v52, v46
	;; [unrolled: 1-line block ×3, first 2 shown]
	v_sub_f32_e32 v12, v12, v44
	v_sub_f32_e32 v44, v52, v46
	v_dual_sub_f32 v46, v48, v47 :: v_dual_sub_f32 v47, v53, v54
	v_dual_fmac_f32 v50, 0x3e9e377a, v64 :: v_dual_add_f32 v5, v53, v54
	v_dual_sub_f32 v14, v61, v45 :: v_dual_sub_f32 v45, v55, v51
	s_delay_alu instid0(VALU_DEP_2)
	v_add_f32_e32 v9, v62, v50
	v_sub_f32_e32 v15, v62, v50
	ds_store_b128 v39, v[0:3]
	ds_store_b128 v39, v[8:11] offset:16
	ds_store_b128 v39, v[4:7] offset:32
	;; [unrolled: 1-line block ×4, first 2 shown]
	global_wb scope:SCOPE_SE
	s_wait_dscnt 0x0
	s_barrier_signal -1
	s_barrier_wait -1
	global_inv scope:SCOPE_SE
	s_clause 0x4
	global_load_b128 v[12:15], v[37:38], off
	global_load_b128 v[8:11], v[37:38], off offset:16
	global_load_b128 v[4:7], v[37:38], off offset:32
	global_load_b128 v[0:3], v[37:38], off offset:48
	global_load_b64 v[37:38], v[37:38], off offset:64
	ds_load_2addr_b64 v[44:47], v43 offset1:10
	ds_load_2addr_b64 v[48:51], v43 offset0:20 offset1:30
	ds_load_2addr_b64 v[52:55], v43 offset0:40 offset1:50
	;; [unrolled: 1-line block ×4, first 2 shown]
	s_wait_loadcnt_dscnt 0x404
	v_mul_f32_e32 v65, v46, v13
	s_wait_dscnt 0x3
	v_mul_f32_e32 v67, v48, v15
	s_wait_loadcnt 0x3
	v_mul_f32_e32 v69, v50, v9
	s_wait_loadcnt_dscnt 0x100
	v_mul_f32_e32 v79, v60, v3
	v_mul_f32_e32 v66, v49, v15
	v_dual_mul_f32 v71, v52, v11 :: v_dual_mul_f32 v64, v47, v13
	v_dual_mul_f32 v73, v54, v5 :: v_dual_mul_f32 v70, v53, v11
	;; [unrolled: 1-line block ×4, first 2 shown]
	s_wait_loadcnt 0x0
	v_dual_mul_f32 v81, v62, v38 :: v_dual_mul_f32 v78, v61, v3
	v_dual_mul_f32 v72, v55, v5 :: v_dual_fmac_f32 v79, v61, v2
	v_fmac_f32_e32 v65, v47, v12
	v_fmac_f32_e32 v67, v49, v14
	v_mul_f32_e32 v80, v63, v38
	v_fmac_f32_e32 v69, v51, v8
	v_fmac_f32_e32 v71, v53, v10
	v_fma_f32 v64, v46, v12, -v64
	v_fma_f32 v46, v48, v14, -v66
	v_fmac_f32_e32 v73, v55, v4
	v_fma_f32 v48, v52, v10, -v70
	v_fmac_f32_e32 v75, v57, v6
	;; [unrolled: 2-line block ×3, first 2 shown]
	v_fma_f32 v50, v56, v6, -v74
	v_mul_f32_e32 v76, v59, v1
	v_fmac_f32_e32 v81, v63, v37
	v_fma_f32 v52, v60, v2, -v78
	s_delay_alu instid0(VALU_DEP_4) | instskip(NEXT) | instid1(VALU_DEP_4)
	v_dual_sub_f32 v56, v67, v79 :: v_dual_add_f32 v55, v48, v50
	v_fma_f32 v51, v58, v0, -v76
	v_dual_sub_f32 v58, v46, v48 :: v_dual_sub_f32 v61, v48, v46
	s_delay_alu instid0(VALU_DEP_4)
	v_dual_sub_f32 v59, v52, v50 :: v_dual_add_f32 v60, v46, v52
	v_add_f32_e32 v63, v45, v67
	v_fma_f32 v53, v62, v37, -v80
	v_dual_sub_f32 v62, v50, v52 :: v_dual_sub_f32 v83, v73, v77
	v_add_f32_e32 v66, v71, v75
	v_add_f32_e32 v74, v67, v79
	v_fma_f32 v49, v54, v4, -v72
	s_delay_alu instid0(VALU_DEP_4)
	v_add_f32_e32 v61, v61, v62
	v_dual_add_f32 v54, v44, v46 :: v_dual_sub_f32 v57, v71, v75
	v_sub_f32_e32 v70, v67, v71
	v_dual_sub_f32 v67, v71, v67 :: v_dual_sub_f32 v82, v69, v81
	v_add_f32_e32 v63, v63, v71
	v_fma_f32 v89, -0.5, v55, v44
	v_fma_f32 v60, -0.5, v60, v44
	;; [unrolled: 1-line block ×4, first 2 shown]
	v_add_f32_e32 v44, v65, v69
	v_dual_add_f32 v45, v73, v77 :: v_dual_add_f32 v58, v58, v59
	v_dual_add_f32 v59, v69, v81 :: v_dual_sub_f32 v46, v46, v52
	v_dual_sub_f32 v85, v53, v51 :: v_dual_sub_f32 v68, v48, v50
	v_sub_f32_e32 v87, v49, v47
	v_sub_f32_e32 v72, v79, v75
	v_add_f32_e32 v78, v64, v47
	v_dual_sub_f32 v84, v47, v49 :: v_dual_sub_f32 v55, v49, v51
	v_sub_f32_e32 v88, v51, v53
	v_sub_f32_e32 v90, v69, v73
	v_add_f32_e32 v48, v54, v48
	v_sub_f32_e32 v54, v81, v77
	v_sub_f32_e32 v69, v73, v69
	v_add_f32_e32 v44, v44, v73
	v_fma_f32 v73, -0.5, v45, v65
	v_fmac_f32_e32 v65, -0.5, v59
	v_fmamk_f32 v59, v56, 0x3f737871, v89
	v_dual_fmac_f32 v89, 0xbf737871, v56 :: v_dual_add_f32 v86, v47, v53
	v_add_f32_e32 v45, v90, v54
	v_sub_f32_e32 v47, v47, v53
	v_sub_f32_e32 v76, v75, v79
	v_dual_add_f32 v80, v49, v51 :: v_dual_add_f32 v49, v78, v49
	v_dual_add_f32 v70, v70, v72 :: v_dual_fmac_f32 v59, 0x3f167918, v57
	s_delay_alu instid0(VALU_DEP_3) | instskip(NEXT) | instid1(VALU_DEP_3)
	v_add_f32_e32 v67, v67, v76
	v_fma_f32 v71, -0.5, v80, v64
	s_delay_alu instid0(VALU_DEP_4) | instskip(SKIP_2) | instid1(VALU_DEP_4)
	v_add_f32_e32 v49, v49, v51
	v_sub_f32_e32 v62, v77, v81
	v_fmac_f32_e32 v64, -0.5, v86
	v_dual_add_f32 v76, v87, v88 :: v_dual_fmamk_f32 v51, v82, 0x3f737871, v71
	v_fmac_f32_e32 v71, 0xbf737871, v82
	s_delay_alu instid0(VALU_DEP_4)
	v_dual_add_f32 v54, v69, v62 :: v_dual_fmamk_f32 v69, v68, 0x3f737871, v74
	v_dual_add_f32 v48, v48, v50 :: v_dual_fmac_f32 v89, 0xbf167918, v57
	v_dual_add_f32 v50, v63, v75 :: v_dual_fmamk_f32 v63, v46, 0xbf737871, v66
	v_fmac_f32_e32 v59, 0x3e9e377a, v58
	v_fmamk_f32 v78, v55, 0x3f737871, v65
	v_dual_fmac_f32 v65, 0xbf737871, v55 :: v_dual_add_f32 v44, v44, v77
	v_fmac_f32_e32 v69, 0xbf167918, v46
	v_dual_fmac_f32 v63, 0xbf167918, v68 :: v_dual_add_f32 v50, v50, v79
	v_fmac_f32_e32 v74, 0xbf737871, v68
	v_dual_fmamk_f32 v62, v57, 0xbf737871, v60 :: v_dual_fmamk_f32 v77, v47, 0xbf737871, v73
	v_dual_add_f32 v72, v84, v85 :: v_dual_fmamk_f32 v75, v83, 0xbf737871, v64
	v_dual_fmac_f32 v73, 0x3f737871, v47 :: v_dual_add_f32 v48, v48, v52
	s_delay_alu instid0(VALU_DEP_4)
	v_dual_fmac_f32 v51, 0x3f167918, v83 :: v_dual_fmac_f32 v74, 0x3f167918, v46
	v_fmac_f32_e32 v66, 0x3f737871, v46
	v_dual_add_f32 v46, v49, v53 :: v_dual_fmac_f32 v77, 0xbf167918, v55
	v_fmac_f32_e32 v75, 0x3f167918, v82
	v_dual_add_f32 v49, v44, v81 :: v_dual_fmac_f32 v62, 0x3f167918, v56
	v_fmac_f32_e32 v73, 0x3f167918, v55
	v_dual_fmac_f32 v74, 0x3e9e377a, v67 :: v_dual_fmac_f32 v51, 0x3e9e377a, v72
	v_fmac_f32_e32 v78, 0xbf167918, v47
	v_fmac_f32_e32 v75, 0x3e9e377a, v76
	;; [unrolled: 1-line block ×8, first 2 shown]
	v_dual_add_f32 v45, v50, v49 :: v_dual_fmac_f32 v66, 0x3f167918, v68
	s_delay_alu instid0(VALU_DEP_4) | instskip(NEXT) | instid1(VALU_DEP_4)
	v_mul_f32_e32 v57, 0x3f737871, v78
	v_fmac_f32_e32 v60, 0xbf167918, v56
	v_fmac_f32_e32 v69, 0x3e9e377a, v67
	v_dual_fmac_f32 v71, 0x3e9e377a, v72 :: v_dual_add_f32 v44, v48, v46
	v_fmac_f32_e32 v66, 0x3e9e377a, v70
	v_sub_f32_e32 v46, v48, v46
	v_mul_f32_e32 v56, 0x3f167918, v77
	v_dual_fmac_f32 v60, 0x3e9e377a, v61 :: v_dual_fmac_f32 v63, 0x3e9e377a, v70
	v_dual_mul_f32 v70, 0xbf737871, v75 :: v_dual_sub_f32 v47, v50, v49
	s_delay_alu instid0(VALU_DEP_3) | instskip(SKIP_2) | instid1(VALU_DEP_4)
	v_fmac_f32_e32 v56, 0x3f4f1bbd, v51
	v_fmac_f32_e32 v65, 0x3e9e377a, v54
	v_dual_fmac_f32 v89, 0x3e9e377a, v58 :: v_dual_fmac_f32 v62, 0x3e9e377a, v61
	v_fmac_f32_e32 v70, 0x3e9e377a, v78
	v_mul_f32_e32 v68, 0xbf167918, v51
	v_add_f32_e32 v48, v59, v56
	v_fmac_f32_e32 v64, 0x3f737871, v83
	s_delay_alu instid0(VALU_DEP_4) | instskip(NEXT) | instid1(VALU_DEP_4)
	v_dual_sub_f32 v56, v59, v56 :: v_dual_sub_f32 v59, v69, v70
	v_fmac_f32_e32 v68, 0x3f4f1bbd, v77
	v_mul_f32_e32 v72, 0xbe9e377a, v65
	s_delay_alu instid0(VALU_DEP_4) | instskip(SKIP_3) | instid1(VALU_DEP_4)
	v_fmac_f32_e32 v64, 0xbf167918, v82
	v_fmac_f32_e32 v57, 0x3e9e377a, v75
	v_mul_f32_e32 v67, 0xbf4f1bbd, v71
	v_add_f32_e32 v49, v63, v68
	v_dual_add_f32 v51, v69, v70 :: v_dual_fmac_f32 v64, 0x3e9e377a, v76
	v_mul_f32_e32 v76, 0xbf4f1bbd, v73
	s_delay_alu instid0(VALU_DEP_4) | instskip(SKIP_1) | instid1(VALU_DEP_4)
	v_fmac_f32_e32 v67, 0x3f167918, v73
	v_add_f32_e32 v50, v62, v57
	v_dual_sub_f32 v58, v62, v57 :: v_dual_mul_f32 v61, 0xbe9e377a, v64
	v_fmac_f32_e32 v72, 0xbf737871, v64
	v_fmac_f32_e32 v76, 0xbf167918, v71
	v_dual_add_f32 v54, v89, v67 :: v_dual_sub_f32 v57, v63, v68
	s_delay_alu instid0(VALU_DEP_4) | instskip(NEXT) | instid1(VALU_DEP_4)
	v_fmac_f32_e32 v61, 0x3f737871, v65
	v_add_f32_e32 v53, v74, v72
	s_delay_alu instid0(VALU_DEP_4) | instskip(NEXT) | instid1(VALU_DEP_3)
	v_dual_add_f32 v55, v66, v76 :: v_dual_sub_f32 v62, v89, v67
	v_dual_sub_f32 v63, v66, v76 :: v_dual_add_f32 v52, v60, v61
	v_dual_sub_f32 v60, v60, v61 :: v_dual_sub_f32 v61, v74, v72
	ds_store_2addr_b64 v43, v[44:45], v[48:49] offset1:10
	ds_store_2addr_b64 v43, v[50:51], v[52:53] offset0:20 offset1:30
	ds_store_2addr_b64 v43, v[54:55], v[46:47] offset0:40 offset1:50
	;; [unrolled: 1-line block ×4, first 2 shown]
	global_wb scope:SCOPE_SE
	s_wait_dscnt 0x0
	s_barrier_signal -1
	s_barrier_wait -1
	global_inv scope:SCOPE_SE
	s_clause 0x9
	global_load_b64 v[64:65], v40, s[8:9] offset:800
	global_load_b64 v[66:67], v40, s[2:3] offset:80
	;; [unrolled: 1-line block ×10, first 2 shown]
	ds_load_2addr_b64 v[44:47], v43 offset1:10
	ds_load_2addr_b64 v[48:51], v43 offset0:20 offset1:30
	ds_load_2addr_b64 v[52:55], v43 offset0:40 offset1:50
	;; [unrolled: 1-line block ×4, first 2 shown]
	s_mov_b32 s2, 0x47ae147b
	s_mov_b32 s3, 0x3f847ae1
	s_wait_loadcnt_dscnt 0x904
	v_mul_f32_e32 v40, v45, v65
	v_mul_f32_e32 v85, v44, v65
	s_wait_loadcnt 0x8
	v_mul_f32_e32 v65, v46, v67
	s_wait_loadcnt_dscnt 0x703
	v_dual_mul_f32 v86, v47, v67 :: v_dual_mul_f32 v67, v48, v69
	v_mul_f32_e32 v87, v49, v69
	v_fmac_f32_e32 v85, v45, v64
	s_wait_loadcnt 0x6
	v_mul_f32_e32 v45, v50, v71
	s_wait_loadcnt_dscnt 0x402
	v_mul_f32_e32 v69, v54, v75
	v_fmac_f32_e32 v67, v49, v68
	v_fma_f32 v84, v44, v64, -v40
	v_mul_f32_e32 v40, v51, v71
	v_fmac_f32_e32 v65, v47, v66
	v_mul_f32_e32 v47, v52, v73
	v_fma_f32 v64, v46, v66, -v86
	v_dual_mul_f32 v46, v53, v73 :: v_dual_fmac_f32 v45, v51, v70
	v_mul_f32_e32 v73, v55, v75
	v_fma_f32 v66, v48, v68, -v87
	s_wait_loadcnt_dscnt 0x201
	v_dual_mul_f32 v48, v57, v77 :: v_dual_mul_f32 v51, v58, v79
	v_mul_f32_e32 v49, v56, v77
	v_fma_f32 v44, v50, v70, -v40
	v_mul_f32_e32 v40, v59, v79
	s_wait_loadcnt_dscnt 0x0
	v_dual_mul_f32 v70, v61, v81 :: v_dual_mul_f32 v75, v63, v83
	v_mul_f32_e32 v71, v60, v81
	v_fmac_f32_e32 v47, v53, v72
	v_mul_f32_e32 v53, v62, v83
	v_fma_f32 v46, v52, v72, -v46
	v_fma_f32 v68, v54, v74, -v73
	v_fmac_f32_e32 v69, v55, v74
	v_fma_f32 v48, v56, v76, -v48
	v_fmac_f32_e32 v49, v57, v76
	;; [unrolled: 2-line block ×5, first 2 shown]
	ds_store_2addr_b64 v43, v[84:85], v[64:65] offset1:10
	ds_store_2addr_b64 v43, v[66:67], v[44:45] offset0:20 offset1:30
	ds_store_2addr_b64 v43, v[46:47], v[68:69] offset0:40 offset1:50
	;; [unrolled: 1-line block ×4, first 2 shown]
	global_wb scope:SCOPE_SE
	s_wait_dscnt 0x0
	s_barrier_signal -1
	s_barrier_wait -1
	global_inv scope:SCOPE_SE
	ds_load_2addr_b64 v[44:47], v43 offset1:10
	ds_load_2addr_b64 v[48:51], v43 offset0:20 offset1:30
	ds_load_2addr_b64 v[52:55], v43 offset0:40 offset1:50
	;; [unrolled: 1-line block ×4, first 2 shown]
	global_wb scope:SCOPE_SE
	s_wait_dscnt 0x0
	s_barrier_signal -1
	s_barrier_wait -1
	global_inv scope:SCOPE_SE
	v_add_f32_e32 v40, v44, v48
	v_dual_sub_f32 v67, v48, v52 :: v_dual_add_f32 v72, v45, v49
	v_add_f32_e32 v64, v52, v56
	v_sub_f32_e32 v68, v60, v56
	v_dual_add_f32 v69, v48, v60 :: v_dual_sub_f32 v76, v61, v57
	v_dual_sub_f32 v65, v49, v61 :: v_dual_sub_f32 v70, v52, v48
	v_dual_sub_f32 v66, v53, v57 :: v_dual_sub_f32 v71, v56, v60
	v_sub_f32_e32 v78, v57, v61
	v_dual_add_f32 v73, v53, v57 :: v_dual_sub_f32 v48, v48, v60
	v_dual_sub_f32 v74, v52, v56 :: v_dual_sub_f32 v75, v49, v53
	v_dual_add_f32 v77, v49, v61 :: v_dual_sub_f32 v86, v51, v55
	v_dual_sub_f32 v49, v53, v49 :: v_dual_sub_f32 v88, v55, v59
	v_add_f32_e32 v79, v46, v50
	v_dual_add_f32 v80, v54, v58 :: v_dual_add_f32 v85, v47, v51
	v_dual_add_f32 v40, v40, v52 :: v_dual_add_f32 v87, v51, v63
	;; [unrolled: 1-line block ×3, first 2 shown]
	v_add_f32_e32 v68, v55, v59
	v_fma_f32 v64, -0.5, v64, v44
	v_fma_f32 v69, -0.5, v69, v44
	v_dual_sub_f32 v81, v51, v63 :: v_dual_sub_f32 v90, v58, v62
	v_sub_f32_e32 v82, v50, v54
	v_add_f32_e32 v83, v50, v62
	v_dual_sub_f32 v84, v54, v50 :: v_dual_sub_f32 v51, v55, v51
	v_sub_f32_e32 v89, v62, v58
	v_dual_sub_f32 v71, v54, v58 :: v_dual_add_f32 v40, v40, v56
	v_dual_add_f32 v75, v75, v76 :: v_dual_fmamk_f32 v56, v65, 0xbf737871, v64
	v_dual_sub_f32 v76, v63, v59 :: v_dual_add_f32 v49, v49, v78
	v_sub_f32_e32 v78, v59, v63
	v_add_f32_e32 v44, v72, v53
	v_fma_f32 v72, -0.5, v73, v45
	s_delay_alu instid0(VALU_DEP_4)
	v_add_f32_e32 v76, v86, v76
	v_fma_f32 v73, -0.5, v77, v45
	v_dual_add_f32 v45, v79, v54 :: v_dual_fmac_f32 v64, 0x3f737871, v65
	v_fma_f32 v52, -0.5, v80, v46
	v_fma_f32 v68, -0.5, v68, v47
	v_fmac_f32_e32 v47, -0.5, v87
	v_fmamk_f32 v77, v66, 0x3f737871, v69
	v_sub_f32_e32 v50, v50, v62
	v_add_f32_e32 v53, v82, v89
	v_fma_f32 v46, -0.5, v83, v46
	v_dual_add_f32 v54, v84, v90 :: v_dual_add_f32 v55, v85, v55
	v_dual_add_f32 v44, v44, v57 :: v_dual_add_f32 v51, v51, v78
	v_fmamk_f32 v78, v74, 0xbf737871, v73
	v_dual_fmac_f32 v73, 0x3f737871, v74 :: v_dual_add_f32 v40, v40, v60
	v_add_f32_e32 v45, v45, v58
	v_fmamk_f32 v58, v81, 0xbf737871, v52
	v_fmamk_f32 v80, v71, 0xbf737871, v47
	;; [unrolled: 1-line block ×3, first 2 shown]
	v_fmac_f32_e32 v72, 0xbf737871, v48
	v_fmac_f32_e32 v52, 0x3f737871, v81
	v_dual_fmac_f32 v56, 0xbf167918, v66 :: v_dual_fmac_f32 v77, 0xbf167918, v65
	v_fmac_f32_e32 v69, 0xbf737871, v66
	v_add_f32_e32 v55, v55, v59
	v_dual_fmamk_f32 v59, v50, 0x3f737871, v68 :: v_dual_add_f32 v60, v44, v61
	v_fmac_f32_e32 v68, 0xbf737871, v50
	v_dual_fmac_f32 v72, 0xbf167918, v74 :: v_dual_fmac_f32 v73, 0xbf167918, v48
	s_delay_alu instid0(VALU_DEP_4)
	v_dual_fmac_f32 v78, 0x3f167918, v48 :: v_dual_add_f32 v55, v55, v63
	v_dual_add_f32 v48, v45, v62 :: v_dual_fmac_f32 v47, 0x3f737871, v71
	v_dual_fmac_f32 v56, 0x3e9e377a, v67 :: v_dual_fmac_f32 v77, 0x3e9e377a, v70
	v_fmamk_f32 v79, v88, 0x3f737871, v46
	v_fmac_f32_e32 v46, 0xbf737871, v88
	v_dual_fmac_f32 v57, 0x3f167918, v74 :: v_dual_fmac_f32 v52, 0x3f167918, v88
	v_dual_fmac_f32 v80, 0x3f167918, v50 :: v_dual_add_f32 v45, v60, v55
	s_delay_alu instid0(VALU_DEP_3) | instskip(SKIP_4) | instid1(VALU_DEP_3)
	v_dual_fmac_f32 v46, 0x3f167918, v81 :: v_dual_fmac_f32 v59, 0x3f167918, v71
	v_add_f32_e32 v44, v40, v48
	v_dual_fmac_f32 v68, 0xbf167918, v71 :: v_dual_fmac_f32 v47, 0xbf167918, v50
	v_dual_fmac_f32 v58, 0xbf167918, v88 :: v_dual_fmac_f32 v79, 0xbf167918, v81
	;; [unrolled: 1-line block ×4, first 2 shown]
	v_fmac_f32_e32 v80, 0x3e9e377a, v51
	v_dual_fmac_f32 v64, 0x3f167918, v66 :: v_dual_fmac_f32 v69, 0x3f167918, v65
	v_dual_fmac_f32 v58, 0x3e9e377a, v53 :: v_dual_fmac_f32 v79, 0x3e9e377a, v54
	;; [unrolled: 1-line block ×3, first 2 shown]
	v_dual_sub_f32 v50, v40, v48 :: v_dual_mul_f32 v61, 0xbf737871, v47
	v_mul_f32_e32 v65, 0x3e9e377a, v80
	v_mul_f32_e32 v66, 0xbe9e377a, v47
	v_dual_fmac_f32 v72, 0x3e9e377a, v75 :: v_dual_fmac_f32 v73, 0x3e9e377a, v49
	s_delay_alu instid0(VALU_DEP_4) | instskip(NEXT) | instid1(VALU_DEP_3)
	v_fmac_f32_e32 v61, 0xbe9e377a, v46
	v_dual_fmac_f32 v65, 0x3f737871, v79 :: v_dual_fmac_f32 v66, 0x3f737871, v46
	v_mul_f32_e32 v40, 0xbf167918, v59
	v_dual_fmac_f32 v68, 0x3e9e377a, v76 :: v_dual_sub_f32 v51, v60, v55
	v_dual_fmac_f32 v64, 0x3e9e377a, v67 :: v_dual_fmac_f32 v69, 0x3e9e377a, v70
	s_delay_alu instid0(VALU_DEP_4) | instskip(NEXT) | instid1(VALU_DEP_4)
	v_add_f32_e32 v55, v73, v66
	v_fmac_f32_e32 v40, 0x3f4f1bbd, v58
	v_mul_f32_e32 v63, 0x3f167918, v58
	s_delay_alu instid0(VALU_DEP_4) | instskip(NEXT) | instid1(VALU_DEP_3)
	v_dual_mul_f32 v67, 0xbf4f1bbd, v68 :: v_dual_add_f32 v54, v69, v61
	v_dual_add_f32 v53, v78, v65 :: v_dual_add_f32 v46, v56, v40
	s_delay_alu instid0(VALU_DEP_3) | instskip(SKIP_1) | instid1(VALU_DEP_4)
	v_fmac_f32_e32 v63, 0x3f4f1bbd, v59
	v_mul_f32_e32 v60, 0xbf737871, v80
	v_fmac_f32_e32 v67, 0x3f167918, v52
	v_mul_f32_e32 v62, 0xbf167918, v68
	v_dual_sub_f32 v56, v56, v40 :: v_dual_sub_f32 v59, v78, v65
	v_add_f32_e32 v47, v57, v63
	v_fmac_f32_e32 v60, 0x3e9e377a, v79
	s_delay_alu instid0(VALU_DEP_4) | instskip(SKIP_1) | instid1(VALU_DEP_3)
	v_dual_add_f32 v49, v72, v67 :: v_dual_fmac_f32 v62, 0xbf4f1bbd, v52
	v_sub_f32_e32 v57, v57, v63
	v_add_f32_e32 v52, v77, v60
	s_delay_alu instid0(VALU_DEP_3)
	v_add_f32_e32 v48, v64, v62
	v_dual_sub_f32 v58, v77, v60 :: v_dual_sub_f32 v63, v72, v67
	v_sub_f32_e32 v60, v69, v61
	v_sub_f32_e32 v62, v64, v62
	;; [unrolled: 1-line block ×3, first 2 shown]
	ds_store_b128 v39, v[44:47]
	ds_store_b128 v39, v[52:55] offset:16
	ds_store_b128 v39, v[48:51] offset:32
	;; [unrolled: 1-line block ×4, first 2 shown]
	global_wb scope:SCOPE_SE
	s_wait_dscnt 0x0
	s_barrier_signal -1
	s_barrier_wait -1
	global_inv scope:SCOPE_SE
	ds_load_2addr_b64 v[44:47], v43 offset1:10
	ds_load_2addr_b64 v[48:51], v43 offset0:20 offset1:30
	ds_load_2addr_b64 v[52:55], v43 offset0:40 offset1:50
	;; [unrolled: 1-line block ×4, first 2 shown]
	v_mad_co_u64_u32 v[64:65], null, s4, v42, 0
	v_mad_co_u64_u32 v[39:40], null, s6, v20, 0
	s_wait_dscnt 0x3
	v_dual_mul_f32 v66, v13, v47 :: v_dual_mul_f32 v67, v15, v49
	s_wait_dscnt 0x2
	v_dual_mul_f32 v69, v11, v53 :: v_dual_mul_f32 v68, v9, v51
	v_mul_f32_e32 v11, v11, v52
	s_wait_dscnt 0x0
	v_dual_mul_f32 v73, v3, v61 :: v_dual_mul_f32 v74, v38, v63
	v_mul_f32_e32 v38, v38, v62
	v_dual_mul_f32 v70, v5, v55 :: v_dual_mul_f32 v71, v7, v57
	v_dual_mul_f32 v7, v7, v56 :: v_dual_mul_f32 v72, v1, v59
	v_dual_mul_f32 v3, v3, v60 :: v_dual_fmac_f32 v66, v12, v46
	v_dual_fmac_f32 v67, v14, v48 :: v_dual_fmac_f32 v68, v8, v50
	v_mul_f32_e32 v5, v5, v54
	v_dual_fmac_f32 v73, v2, v60 :: v_dual_fmac_f32 v74, v37, v62
	v_mul_f32_e32 v9, v9, v50
	v_mul_f32_e32 v15, v15, v48
	v_dual_fmac_f32 v69, v10, v52 :: v_dual_fmac_f32 v70, v4, v54
	v_dual_fmac_f32 v71, v6, v56 :: v_dual_fmac_f32 v72, v0, v58
	v_dual_mul_f32 v13, v13, v46 :: v_dual_sub_f32 v48, v67, v73
	v_fma_f32 v8, v8, v51, -v9
	v_add_f32_e32 v54, v66, v68
	v_fma_f32 v4, v4, v55, -v5
	v_mul_f32_e32 v1, v1, v58
	v_fma_f32 v9, v10, v53, -v11
	v_fma_f32 v5, v6, v57, -v7
	v_dual_add_f32 v6, v69, v71 :: v_dual_sub_f32 v11, v67, v69
	v_sub_f32_e32 v76, v8, v4
	v_fma_f32 v0, v0, v59, -v1
	v_fma_f32 v1, v2, v61, -v3
	;; [unrolled: 1-line block ×3, first 2 shown]
	v_sub_f32_e32 v38, v71, v73
	v_fma_f32 v12, v12, v47, -v13
	v_fma_f32 v13, v14, v49, -v15
	v_dual_add_f32 v3, v44, v67 :: v_dual_sub_f32 v10, v9, v5
	v_dual_add_f32 v47, v9, v5 :: v_dual_add_f32 v60, v68, v74
	s_delay_alu instid0(VALU_DEP_3)
	v_dual_add_f32 v46, v45, v13 :: v_dual_add_f32 v55, v70, v72
	v_dual_sub_f32 v7, v13, v1 :: v_dual_sub_f32 v56, v8, v2
	v_dual_sub_f32 v14, v73, v71 :: v_dual_add_f32 v15, v67, v73
	v_dual_sub_f32 v37, v69, v67 :: v_dual_sub_f32 v58, v68, v70
	v_dual_sub_f32 v49, v69, v71 :: v_dual_sub_f32 v62, v72, v74
	v_dual_sub_f32 v50, v13, v9 :: v_dual_sub_f32 v57, v4, v0
	v_sub_f32_e32 v51, v1, v5
	v_dual_add_f32 v52, v13, v1 :: v_dual_sub_f32 v59, v74, v72
	v_dual_sub_f32 v13, v9, v13 :: v_dual_add_f32 v78, v8, v2
	v_dual_sub_f32 v61, v70, v68 :: v_dual_sub_f32 v68, v68, v74
	v_add_f32_e32 v63, v12, v8
	v_add_f32_e32 v9, v46, v9
	v_fma_f32 v46, -0.5, v47, v45
	v_add_f32_e32 v3, v3, v69
	v_fma_f32 v69, -0.5, v6, v44
	v_dual_sub_f32 v53, v5, v1 :: v_dual_sub_f32 v8, v4, v8
	v_add_f32_e32 v67, v4, v0
	v_dual_sub_f32 v77, v2, v0 :: v_dual_add_f32 v6, v11, v14
	v_dual_add_f32 v14, v50, v51 :: v_dual_add_f32 v11, v37, v38
	v_add_f32_e32 v4, v63, v4
	v_fma_f32 v38, -0.5, v52, v45
	v_dual_add_f32 v37, v54, v70 :: v_dual_fmamk_f32 v52, v7, 0xbf737871, v69
	v_dual_fmamk_f32 v54, v48, 0x3f737871, v46 :: v_dual_add_f32 v3, v3, v71
	v_sub_f32_e32 v79, v0, v2
	v_fma_f32 v15, -0.5, v15, v44
	v_fma_f32 v44, -0.5, v55, v66
	v_fmac_f32_e32 v66, -0.5, v60
	s_delay_alu instid0(VALU_DEP_4)
	v_dual_sub_f32 v75, v70, v72 :: v_dual_add_f32 v8, v8, v79
	v_fma_f32 v50, -0.5, v67, v12
	v_fmac_f32_e32 v12, -0.5, v78
	v_dual_fmac_f32 v46, 0xbf737871, v48 :: v_dual_add_f32 v5, v9, v5
	v_fmac_f32_e32 v52, 0xbf167918, v10
	v_dual_add_f32 v0, v4, v0 :: v_dual_add_f32 v3, v3, v73
	v_fmamk_f32 v55, v49, 0xbf737871, v38
	v_fmac_f32_e32 v38, 0x3f737871, v49
	v_add_f32_e32 v13, v13, v53
	v_dual_add_f32 v45, v58, v59 :: v_dual_fmamk_f32 v58, v57, 0x3f737871, v66
	v_dual_add_f32 v47, v61, v62 :: v_dual_fmac_f32 v66, 0xbf737871, v57
	v_fmamk_f32 v53, v10, 0x3f737871, v15
	v_fmac_f32_e32 v38, 0xbf167918, v48
	v_fmac_f32_e32 v15, 0xbf737871, v10
	;; [unrolled: 1-line block ×3, first 2 shown]
	v_fmamk_f32 v59, v75, 0xbf737871, v12
	v_dual_add_f32 v9, v37, v72 :: v_dual_fmac_f32 v54, 0x3f167918, v49
	s_delay_alu instid0(VALU_DEP_4) | instskip(NEXT) | instid1(VALU_DEP_3)
	v_dual_fmac_f32 v15, 0x3f167918, v7 :: v_dual_fmac_f32 v66, 0x3f167918, v56
	v_fmac_f32_e32 v59, 0x3f167918, v68
	v_add_f32_e32 v51, v76, v77
	v_dual_fmac_f32 v69, 0x3f737871, v7 :: v_dual_fmamk_f32 v4, v68, 0x3f737871, v50
	v_fmac_f32_e32 v50, 0xbf737871, v68
	v_fmac_f32_e32 v12, 0x3f737871, v75
	v_dual_fmac_f32 v53, 0xbf167918, v7 :: v_dual_fmac_f32 v46, 0xbf167918, v49
	s_delay_alu instid0(VALU_DEP_3)
	v_dual_add_f32 v7, v9, v74 :: v_dual_fmac_f32 v50, 0xbf167918, v75
	v_dual_fmac_f32 v66, 0x3e9e377a, v47 :: v_dual_fmac_f32 v59, 0x3e9e377a, v8
	v_fmamk_f32 v37, v56, 0xbf737871, v44
	v_dual_fmac_f32 v44, 0x3f737871, v56 :: v_dual_add_f32 v5, v5, v1
	v_dual_fmac_f32 v58, 0xbf167918, v56 :: v_dual_add_f32 v9, v0, v2
	v_fmac_f32_e32 v38, 0x3e9e377a, v13
	v_fmac_f32_e32 v4, 0x3f167918, v75
	v_dual_fmac_f32 v15, 0x3e9e377a, v11 :: v_dual_fmac_f32 v54, 0x3e9e377a, v14
	v_dual_sub_f32 v2, v3, v7 :: v_dual_fmac_f32 v55, 0x3f167918, v48
	v_fmac_f32_e32 v46, 0x3e9e377a, v14
	v_mul_f32_e32 v14, 0xbf737871, v59
	v_dual_fmac_f32 v37, 0xbf167918, v57 :: v_dual_fmac_f32 v12, 0xbf167918, v68
	v_fmac_f32_e32 v58, 0x3e9e377a, v47
	v_dual_fmac_f32 v4, 0x3e9e377a, v51 :: v_dual_add_f32 v1, v5, v9
	s_delay_alu instid0(VALU_DEP_3)
	v_fmac_f32_e32 v37, 0x3e9e377a, v45
	v_dual_fmac_f32 v69, 0x3f167918, v10 :: v_dual_fmac_f32 v44, 0x3f167918, v57
	v_fmac_f32_e32 v50, 0x3e9e377a, v51
	v_fmac_f32_e32 v53, 0x3e9e377a, v11
	v_dual_fmac_f32 v55, 0x3e9e377a, v13 :: v_dual_fmac_f32 v12, 0x3e9e377a, v8
	v_dual_mul_f32 v49, 0x3e9e377a, v59 :: v_dual_fmac_f32 v14, 0x3e9e377a, v58
	v_mul_f32_e32 v13, 0xbf167918, v4
	v_dual_fmac_f32 v69, 0x3e9e377a, v6 :: v_dual_fmac_f32 v44, 0x3e9e377a, v45
	v_dual_add_f32 v0, v3, v7 :: v_dual_sub_f32 v3, v5, v9
	v_mul_f32_e32 v47, 0xbf167918, v50
	v_add_f32_e32 v6, v53, v14
	v_dual_mul_f32 v48, 0x3f4f1bbd, v4 :: v_dual_fmac_f32 v13, 0x3f4f1bbd, v37
	v_mul_f32_e32 v51, 0xbe9e377a, v12
	s_delay_alu instid0(VALU_DEP_4) | instskip(SKIP_1) | instid1(VALU_DEP_4)
	v_dual_mul_f32 v50, 0xbf4f1bbd, v50 :: v_dual_fmac_f32 v47, 0xbf4f1bbd, v44
	v_mul_f32_e32 v45, 0xbf737871, v12
	v_fmac_f32_e32 v48, 0x3f167918, v37
	s_delay_alu instid0(VALU_DEP_4) | instskip(NEXT) | instid1(VALU_DEP_4)
	v_dual_sub_f32 v12, v52, v13 :: v_dual_fmac_f32 v51, 0x3f737871, v66
	v_dual_fmac_f32 v49, 0x3f737871, v58 :: v_dual_add_f32 v10, v69, v47
	s_delay_alu instid0(VALU_DEP_4) | instskip(NEXT) | instid1(VALU_DEP_4)
	v_fmac_f32_e32 v45, 0xbe9e377a, v66
	v_add_f32_e32 v5, v54, v48
	s_delay_alu instid0(VALU_DEP_4) | instskip(SKIP_4) | instid1(VALU_DEP_3)
	v_dual_add_f32 v9, v38, v51 :: v_dual_sub_f32 v14, v53, v14
	v_sub_f32_e32 v38, v38, v51
	v_dual_fmac_f32 v50, 0x3f167918, v44 :: v_dual_add_f32 v7, v55, v49
	v_add_f32_e32 v4, v52, v13
	v_sub_f32_e32 v44, v69, v47
	v_dual_add_f32 v8, v15, v45 :: v_dual_add_f32 v11, v46, v50
	v_sub_f32_e32 v37, v15, v45
	v_sub_f32_e32 v13, v54, v48
	;; [unrolled: 1-line block ×4, first 2 shown]
	ds_store_2addr_b64 v43, v[0:1], v[4:5] offset1:10
	ds_store_2addr_b64 v43, v[6:7], v[8:9] offset0:20 offset1:30
	ds_store_2addr_b64 v43, v[10:11], v[2:3] offset0:40 offset1:50
	;; [unrolled: 1-line block ×4, first 2 shown]
	v_mov_b32_e32 v8, v65
	global_wb scope:SCOPE_SE
	s_wait_dscnt 0x0
	s_barrier_signal -1
	s_barrier_wait -1
	global_inv scope:SCOPE_SE
	v_mad_co_u64_u32 v[44:45], null, s5, v42, v[8:9]
	ds_load_2addr_b64 v[0:3], v43 offset1:10
	ds_load_2addr_b64 v[4:7], v43 offset0:20 offset1:30
	ds_load_2addr_b64 v[8:11], v43 offset0:40 offset1:50
	ds_load_2addr_b64 v[12:15], v43 offset0:60 offset1:70
	v_mad_co_u64_u32 v[37:38], null, s7, v20, v[40:41]
	v_mov_b32_e32 v65, v44
	ds_load_2addr_b64 v[42:45], v43 offset0:80 offset1:90
	v_mov_b32_e32 v40, v37
	s_delay_alu instid0(VALU_DEP_1)
	v_lshlrev_b64_e32 v[37:38], 3, v[39:40]
	s_wait_dscnt 0x4
	v_mul_f32_e32 v20, v17, v1
	v_dual_mul_f32 v17, v17, v0 :: v_dual_mul_f32 v46, v22, v3
	v_mul_f32_e32 v22, v22, v2
	s_wait_dscnt 0x3
	v_mul_f32_e32 v47, v26, v5
	v_mul_f32_e32 v26, v26, v4
	;; [unrolled: 1-line block ×4, first 2 shown]
	s_wait_dscnt 0x2
	v_dual_mul_f32 v49, v28, v9 :: v_dual_mul_f32 v50, v30, v11
	v_mul_f32_e32 v28, v28, v8
	s_wait_dscnt 0x1
	v_dual_mul_f32 v30, v30, v10 :: v_dual_mul_f32 v51, v32, v13
	s_wait_dscnt 0x0
	v_dual_mul_f32 v32, v32, v12 :: v_dual_mul_f32 v53, v19, v43
	v_dual_mul_f32 v52, v36, v15 :: v_dual_mul_f32 v19, v19, v42
	v_dual_mul_f32 v36, v36, v14 :: v_dual_fmac_f32 v47, v25, v4
	s_delay_alu instid0(VALU_DEP_3)
	v_dual_fmac_f32 v20, v16, v0 :: v_dual_fmac_f32 v53, v18, v42
	v_fma_f32 v16, v16, v1, -v17
	v_dual_fmac_f32 v46, v21, v2 :: v_dual_fmac_f32 v51, v31, v12
	v_fma_f32 v17, v21, v3, -v22
	v_fma_f32 v21, v25, v5, -v26
	v_fmac_f32_e32 v48, v23, v6
	v_fma_f32 v22, v23, v7, -v24
	v_fma_f32 v23, v27, v9, -v28
	;; [unrolled: 1-line block ×3, first 2 shown]
	v_fmac_f32_e32 v50, v29, v10
	v_fmac_f32_e32 v52, v35, v14
	v_fma_f32 v30, v35, v15, -v36
	v_fma_f32 v35, v18, v43, -v19
	v_cvt_f64_f32_e32 v[0:1], v20
	v_cvt_f64_f32_e32 v[2:3], v16
	;; [unrolled: 1-line block ×7, first 2 shown]
	v_dual_mul_f32 v54, v34, v45 :: v_dual_fmac_f32 v49, v27, v8
	v_mul_f32_e32 v34, v34, v44
	v_lshlrev_b64_e32 v[39:40], 3, v[64:65]
	v_cvt_f64_f32_e32 v[20:21], v50
	v_cvt_f64_f32_e32 v[24:25], v51
	v_mad_co_u64_u32 v[50:51], null, s4, v41, 0
	v_fma_f32 v36, v33, v45, -v34
	v_add_co_u32 v58, vcc_lo, s0, v37
	s_wait_alu 0xfffd
	v_add_co_ci_u32_e32 v59, vcc_lo, s1, v38, vcc_lo
	v_fmac_f32_e32 v54, v33, v44
	v_cvt_f64_f32_e32 v[44:45], v36
	v_add_co_u32 v36, vcc_lo, v58, v39
	s_wait_alu 0xfffd
	v_add_co_ci_u32_e32 v37, vcc_lo, v59, v40, vcc_lo
	v_mov_b32_e32 v40, v51
	v_fma_f32 v26, v31, v13, -v32
	v_cvt_f64_f32_e32 v[6:7], v17
	v_cvt_f64_f32_e32 v[8:9], v47
	;; [unrolled: 1-line block ×9, first 2 shown]
	s_mul_u64 s[0:1], s[4:5], 0x50
	s_wait_alu 0xfffe
	v_mul_f64_e32 v[0:1], s[2:3], v[0:1]
	v_mul_f64_e32 v[2:3], s[2:3], v[2:3]
	;; [unrolled: 1-line block ×7, first 2 shown]
	v_add_co_u32 v38, vcc_lo, v36, s0
	s_wait_alu 0xfffd
	v_add_co_ci_u32_e32 v39, vcc_lo, s1, v37, vcc_lo
	v_mul_f64_e32 v[20:21], s[2:3], v[20:21]
	v_mul_f64_e32 v[24:25], s[2:3], v[24:25]
	v_add_co_u32 v46, vcc_lo, v38, s0
	s_wait_alu 0xfffd
	v_add_co_ci_u32_e32 v47, vcc_lo, s1, v39, vcc_lo
	v_mul_f64_e32 v[44:45], s[2:3], v[44:45]
	v_mul_f64_e32 v[6:7], s[2:3], v[6:7]
	;; [unrolled: 1-line block ×10, first 2 shown]
	v_cvt_f32_f64_e32 v0, v[0:1]
	v_cvt_f32_f64_e32 v1, v[2:3]
	;; [unrolled: 1-line block ×5, first 2 shown]
	v_mad_co_u64_u32 v[22:23], null, s5, v41, v[40:41]
	v_cvt_f32_f64_e32 v10, v[20:21]
	s_delay_alu instid0(VALU_DEP_2) | instskip(SKIP_4) | instid1(VALU_DEP_2)
	v_mov_b32_e32 v51, v22
	v_cvt_f64_f32_e32 v[12:13], v48
	v_add_co_u32 v48, vcc_lo, v46, s0
	s_wait_alu 0xfffd
	v_add_co_ci_u32_e32 v49, vcc_lo, s1, v47, vcc_lo
	v_add_co_u32 v52, vcc_lo, v48, s0
	s_wait_alu 0xfffd
	s_delay_alu instid0(VALU_DEP_2) | instskip(NEXT) | instid1(VALU_DEP_2)
	v_add_co_ci_u32_e32 v53, vcc_lo, s1, v49, vcc_lo
	v_add_co_u32 v54, vcc_lo, v52, s0
	v_cvt_f32_f64_e32 v3, v[6:7]
	s_wait_alu 0xfffd
	s_delay_alu instid0(VALU_DEP_3)
	v_add_co_ci_u32_e32 v55, vcc_lo, s1, v53, vcc_lo
	v_cvt_f32_f64_e32 v4, v[8:9]
	v_cvt_f32_f64_e32 v7, v[14:15]
	;; [unrolled: 1-line block ×4, first 2 shown]
	v_add_co_u32 v56, vcc_lo, v54, s0
	s_wait_alu 0xfffd
	v_add_co_ci_u32_e32 v57, vcc_lo, s1, v55, vcc_lo
	v_cvt_f32_f64_e32 v14, v[28:29]
	v_cvt_f32_f64_e32 v15, v[30:31]
	;; [unrolled: 1-line block ×6, first 2 shown]
	v_add_co_u32 v20, vcc_lo, v56, s0
	s_wait_alu 0xfffd
	v_add_co_ci_u32_e32 v21, vcc_lo, s1, v57, vcc_lo
	v_mul_f64_e32 v[12:13], s[2:3], v[12:13]
	s_delay_alu instid0(VALU_DEP_1) | instskip(SKIP_3) | instid1(VALU_DEP_1)
	v_cvt_f32_f64_e32 v6, v[12:13]
	v_cvt_f32_f64_e32 v12, v[24:25]
	;; [unrolled: 1-line block ×3, first 2 shown]
	v_mad_co_u64_u32 v[23:24], null, 0xa0, s4, v[20:21]
	v_mov_b32_e32 v22, v24
	v_lshlrev_b64_e32 v[24:25], 3, v[50:51]
	s_delay_alu instid0(VALU_DEP_2) | instskip(NEXT) | instid1(VALU_DEP_2)
	v_mad_co_u64_u32 v[26:27], null, 0xa0, s5, v[22:23]
	v_add_co_u32 v27, vcc_lo, v58, v24
	s_wait_alu 0xfffd
	s_delay_alu instid0(VALU_DEP_3) | instskip(NEXT) | instid1(VALU_DEP_3)
	v_add_co_ci_u32_e32 v28, vcc_lo, v59, v25, vcc_lo
	v_mov_b32_e32 v24, v26
	s_clause 0x4
	global_store_b64 v[36:37], v[0:1], off
	global_store_b64 v[38:39], v[2:3], off
	;; [unrolled: 1-line block ×10, first 2 shown]
.LBB0_2:
	s_nop 0
	s_sendmsg sendmsg(MSG_DEALLOC_VGPRS)
	s_endpgm
	.section	.rodata,"a",@progbits
	.p2align	6, 0x0
	.amdhsa_kernel bluestein_single_fwd_len100_dim1_sp_op_CI_CI
		.amdhsa_group_segment_fixed_size 4800
		.amdhsa_private_segment_fixed_size 0
		.amdhsa_kernarg_size 104
		.amdhsa_user_sgpr_count 2
		.amdhsa_user_sgpr_dispatch_ptr 0
		.amdhsa_user_sgpr_queue_ptr 0
		.amdhsa_user_sgpr_kernarg_segment_ptr 1
		.amdhsa_user_sgpr_dispatch_id 0
		.amdhsa_user_sgpr_private_segment_size 0
		.amdhsa_wavefront_size32 1
		.amdhsa_uses_dynamic_stack 0
		.amdhsa_enable_private_segment 0
		.amdhsa_system_sgpr_workgroup_id_x 1
		.amdhsa_system_sgpr_workgroup_id_y 0
		.amdhsa_system_sgpr_workgroup_id_z 0
		.amdhsa_system_sgpr_workgroup_info 0
		.amdhsa_system_vgpr_workitem_id 0
		.amdhsa_next_free_vgpr 91
		.amdhsa_next_free_sgpr 20
		.amdhsa_reserve_vcc 1
		.amdhsa_float_round_mode_32 0
		.amdhsa_float_round_mode_16_64 0
		.amdhsa_float_denorm_mode_32 3
		.amdhsa_float_denorm_mode_16_64 3
		.amdhsa_fp16_overflow 0
		.amdhsa_workgroup_processor_mode 1
		.amdhsa_memory_ordered 1
		.amdhsa_forward_progress 0
		.amdhsa_round_robin_scheduling 0
		.amdhsa_exception_fp_ieee_invalid_op 0
		.amdhsa_exception_fp_denorm_src 0
		.amdhsa_exception_fp_ieee_div_zero 0
		.amdhsa_exception_fp_ieee_overflow 0
		.amdhsa_exception_fp_ieee_underflow 0
		.amdhsa_exception_fp_ieee_inexact 0
		.amdhsa_exception_int_div_zero 0
	.end_amdhsa_kernel
	.text
.Lfunc_end0:
	.size	bluestein_single_fwd_len100_dim1_sp_op_CI_CI, .Lfunc_end0-bluestein_single_fwd_len100_dim1_sp_op_CI_CI
                                        ; -- End function
	.section	.AMDGPU.csdata,"",@progbits
; Kernel info:
; codeLenInByte = 7060
; NumSgprs: 22
; NumVgprs: 91
; ScratchSize: 0
; MemoryBound: 0
; FloatMode: 240
; IeeeMode: 1
; LDSByteSize: 4800 bytes/workgroup (compile time only)
; SGPRBlocks: 2
; VGPRBlocks: 11
; NumSGPRsForWavesPerEU: 22
; NumVGPRsForWavesPerEU: 91
; Occupancy: 14
; WaveLimiterHint : 1
; COMPUTE_PGM_RSRC2:SCRATCH_EN: 0
; COMPUTE_PGM_RSRC2:USER_SGPR: 2
; COMPUTE_PGM_RSRC2:TRAP_HANDLER: 0
; COMPUTE_PGM_RSRC2:TGID_X_EN: 1
; COMPUTE_PGM_RSRC2:TGID_Y_EN: 0
; COMPUTE_PGM_RSRC2:TGID_Z_EN: 0
; COMPUTE_PGM_RSRC2:TIDIG_COMP_CNT: 0
	.text
	.p2alignl 7, 3214868480
	.fill 96, 4, 3214868480
	.type	__hip_cuid_229c15de569fc679,@object ; @__hip_cuid_229c15de569fc679
	.section	.bss,"aw",@nobits
	.globl	__hip_cuid_229c15de569fc679
__hip_cuid_229c15de569fc679:
	.byte	0                               ; 0x0
	.size	__hip_cuid_229c15de569fc679, 1

	.ident	"AMD clang version 19.0.0git (https://github.com/RadeonOpenCompute/llvm-project roc-6.4.0 25133 c7fe45cf4b819c5991fe208aaa96edf142730f1d)"
	.section	".note.GNU-stack","",@progbits
	.addrsig
	.addrsig_sym __hip_cuid_229c15de569fc679
	.amdgpu_metadata
---
amdhsa.kernels:
  - .args:
      - .actual_access:  read_only
        .address_space:  global
        .offset:         0
        .size:           8
        .value_kind:     global_buffer
      - .actual_access:  read_only
        .address_space:  global
        .offset:         8
        .size:           8
        .value_kind:     global_buffer
      - .actual_access:  read_only
        .address_space:  global
        .offset:         16
        .size:           8
        .value_kind:     global_buffer
      - .actual_access:  read_only
        .address_space:  global
        .offset:         24
        .size:           8
        .value_kind:     global_buffer
      - .actual_access:  read_only
        .address_space:  global
        .offset:         32
        .size:           8
        .value_kind:     global_buffer
      - .offset:         40
        .size:           8
        .value_kind:     by_value
      - .address_space:  global
        .offset:         48
        .size:           8
        .value_kind:     global_buffer
      - .address_space:  global
        .offset:         56
        .size:           8
        .value_kind:     global_buffer
      - .address_space:  global
        .offset:         64
        .size:           8
        .value_kind:     global_buffer
      - .address_space:  global
        .offset:         72
        .size:           8
        .value_kind:     global_buffer
      - .offset:         80
        .size:           4
        .value_kind:     by_value
      - .address_space:  global
        .offset:         88
        .size:           8
        .value_kind:     global_buffer
      - .address_space:  global
        .offset:         96
        .size:           8
        .value_kind:     global_buffer
    .group_segment_fixed_size: 4800
    .kernarg_segment_align: 8
    .kernarg_segment_size: 104
    .language:       OpenCL C
    .language_version:
      - 2
      - 0
    .max_flat_workgroup_size: 60
    .name:           bluestein_single_fwd_len100_dim1_sp_op_CI_CI
    .private_segment_fixed_size: 0
    .sgpr_count:     22
    .sgpr_spill_count: 0
    .symbol:         bluestein_single_fwd_len100_dim1_sp_op_CI_CI.kd
    .uniform_work_group_size: 1
    .uses_dynamic_stack: false
    .vgpr_count:     91
    .vgpr_spill_count: 0
    .wavefront_size: 32
    .workgroup_processor_mode: 1
amdhsa.target:   amdgcn-amd-amdhsa--gfx1201
amdhsa.version:
  - 1
  - 2
...

	.end_amdgpu_metadata
